;; amdgpu-corpus repo=ROCm/rocFFT kind=compiled arch=gfx906 opt=O3
	.text
	.amdgcn_target "amdgcn-amd-amdhsa--gfx906"
	.amdhsa_code_object_version 6
	.protected	fft_rtc_fwd_len105_factors_7_3_5_wgs_252_tpt_21_sp_op_CI_CI_unitstride_sbrr_dirReg ; -- Begin function fft_rtc_fwd_len105_factors_7_3_5_wgs_252_tpt_21_sp_op_CI_CI_unitstride_sbrr_dirReg
	.globl	fft_rtc_fwd_len105_factors_7_3_5_wgs_252_tpt_21_sp_op_CI_CI_unitstride_sbrr_dirReg
	.p2align	8
	.type	fft_rtc_fwd_len105_factors_7_3_5_wgs_252_tpt_21_sp_op_CI_CI_unitstride_sbrr_dirReg,@function
fft_rtc_fwd_len105_factors_7_3_5_wgs_252_tpt_21_sp_op_CI_CI_unitstride_sbrr_dirReg: ; @fft_rtc_fwd_len105_factors_7_3_5_wgs_252_tpt_21_sp_op_CI_CI_unitstride_sbrr_dirReg
; %bb.0:
	s_load_dwordx4 s[8:11], s[4:5], 0x58
	s_load_dwordx4 s[12:15], s[4:5], 0x0
	;; [unrolled: 1-line block ×3, first 2 shown]
	v_mul_u32_u24_e32 v1, 0xc31, v0
	v_lshrrev_b32_e32 v1, 16, v1
	v_mad_u64_u32 v[1:2], s[0:1], s6, 12, v[1:2]
	v_mov_b32_e32 v5, 0
	v_mov_b32_e32 v3, 0
	;; [unrolled: 1-line block ×3, first 2 shown]
	s_waitcnt lgkmcnt(0)
	v_cmp_lt_u64_e64 s[0:1], s[14:15], 2
	v_mov_b32_e32 v4, 0
	v_mov_b32_e32 v9, v4
	;; [unrolled: 1-line block ×3, first 2 shown]
	s_and_b64 vcc, exec, s[0:1]
	v_mov_b32_e32 v8, v3
	v_mov_b32_e32 v10, v1
	s_cbranch_vccnz .LBB0_8
; %bb.1:
	s_load_dwordx2 s[0:1], s[4:5], 0x10
	s_add_u32 s2, s18, 8
	s_addc_u32 s3, s19, 0
	s_add_u32 s6, s16, 8
	v_mov_b32_e32 v3, 0
	s_addc_u32 s7, s17, 0
	v_mov_b32_e32 v4, 0
	s_waitcnt lgkmcnt(0)
	s_add_u32 s20, s0, 8
	v_mov_b32_e32 v9, v4
	v_mov_b32_e32 v13, v2
	s_addc_u32 s21, s1, 0
	s_mov_b64 s[22:23], 1
	v_mov_b32_e32 v8, v3
	v_mov_b32_e32 v12, v1
.LBB0_2:                                ; =>This Inner Loop Header: Depth=1
	s_load_dwordx2 s[24:25], s[20:21], 0x0
                                        ; implicit-def: $vgpr10_vgpr11
	s_waitcnt lgkmcnt(0)
	v_or_b32_e32 v6, s25, v13
	v_cmp_ne_u64_e32 vcc, 0, v[5:6]
	s_and_saveexec_b64 s[0:1], vcc
	s_xor_b64 s[26:27], exec, s[0:1]
	s_cbranch_execz .LBB0_4
; %bb.3:                                ;   in Loop: Header=BB0_2 Depth=1
	v_cvt_f32_u32_e32 v2, s24
	v_cvt_f32_u32_e32 v6, s25
	s_sub_u32 s0, 0, s24
	s_subb_u32 s1, 0, s25
	v_mac_f32_e32 v2, 0x4f800000, v6
	v_rcp_f32_e32 v2, v2
	v_mul_f32_e32 v2, 0x5f7ffffc, v2
	v_mul_f32_e32 v6, 0x2f800000, v2
	v_trunc_f32_e32 v6, v6
	v_mac_f32_e32 v2, 0xcf800000, v6
	v_cvt_u32_f32_e32 v6, v6
	v_cvt_u32_f32_e32 v2, v2
	v_mul_lo_u32 v7, s0, v6
	v_mul_hi_u32 v10, s0, v2
	v_mul_lo_u32 v14, s1, v2
	v_mul_lo_u32 v11, s0, v2
	v_add_u32_e32 v7, v10, v7
	v_add_u32_e32 v7, v7, v14
	v_mul_hi_u32 v10, v2, v11
	v_mul_lo_u32 v14, v2, v7
	v_mul_hi_u32 v16, v2, v7
	v_mul_hi_u32 v15, v6, v11
	v_mul_lo_u32 v11, v6, v11
	v_mul_hi_u32 v17, v6, v7
	v_add_co_u32_e32 v10, vcc, v10, v14
	v_addc_co_u32_e32 v14, vcc, 0, v16, vcc
	v_mul_lo_u32 v7, v6, v7
	v_add_co_u32_e32 v10, vcc, v10, v11
	v_addc_co_u32_e32 v10, vcc, v14, v15, vcc
	v_addc_co_u32_e32 v11, vcc, 0, v17, vcc
	v_add_co_u32_e32 v7, vcc, v10, v7
	v_addc_co_u32_e32 v10, vcc, 0, v11, vcc
	v_add_co_u32_e32 v2, vcc, v2, v7
	v_addc_co_u32_e32 v6, vcc, v6, v10, vcc
	v_mul_lo_u32 v7, s0, v6
	v_mul_hi_u32 v10, s0, v2
	v_mul_lo_u32 v11, s1, v2
	v_mul_lo_u32 v14, s0, v2
	v_add_u32_e32 v7, v10, v7
	v_add_u32_e32 v7, v7, v11
	v_mul_lo_u32 v15, v2, v7
	v_mul_hi_u32 v16, v2, v14
	v_mul_hi_u32 v17, v2, v7
	;; [unrolled: 1-line block ×3, first 2 shown]
	v_mul_lo_u32 v14, v6, v14
	v_mul_hi_u32 v10, v6, v7
	v_add_co_u32_e32 v15, vcc, v16, v15
	v_addc_co_u32_e32 v16, vcc, 0, v17, vcc
	v_mul_lo_u32 v7, v6, v7
	v_add_co_u32_e32 v14, vcc, v15, v14
	v_addc_co_u32_e32 v11, vcc, v16, v11, vcc
	v_addc_co_u32_e32 v10, vcc, 0, v10, vcc
	v_add_co_u32_e32 v7, vcc, v11, v7
	v_addc_co_u32_e32 v10, vcc, 0, v10, vcc
	v_add_co_u32_e32 v2, vcc, v2, v7
	v_addc_co_u32_e32 v10, vcc, v6, v10, vcc
	v_mad_u64_u32 v[6:7], s[0:1], v12, v10, 0
	v_mul_hi_u32 v11, v12, v2
	v_add_co_u32_e32 v14, vcc, v11, v6
	v_addc_co_u32_e32 v15, vcc, 0, v7, vcc
	v_mad_u64_u32 v[6:7], s[0:1], v13, v2, 0
	v_mad_u64_u32 v[10:11], s[0:1], v13, v10, 0
	v_add_co_u32_e32 v2, vcc, v14, v6
	v_addc_co_u32_e32 v2, vcc, v15, v7, vcc
	v_addc_co_u32_e32 v6, vcc, 0, v11, vcc
	v_add_co_u32_e32 v2, vcc, v2, v10
	v_addc_co_u32_e32 v10, vcc, 0, v6, vcc
	v_mul_lo_u32 v11, s25, v2
	v_mul_lo_u32 v14, s24, v10
	v_mad_u64_u32 v[6:7], s[0:1], s24, v2, 0
	v_add3_u32 v7, v7, v14, v11
	v_sub_u32_e32 v11, v13, v7
	v_mov_b32_e32 v14, s25
	v_sub_co_u32_e32 v6, vcc, v12, v6
	v_subb_co_u32_e64 v11, s[0:1], v11, v14, vcc
	v_subrev_co_u32_e64 v14, s[0:1], s24, v6
	v_subbrev_co_u32_e64 v11, s[0:1], 0, v11, s[0:1]
	v_cmp_le_u32_e64 s[0:1], s25, v11
	v_cndmask_b32_e64 v15, 0, -1, s[0:1]
	v_cmp_le_u32_e64 s[0:1], s24, v14
	v_cndmask_b32_e64 v14, 0, -1, s[0:1]
	v_cmp_eq_u32_e64 s[0:1], s25, v11
	v_cndmask_b32_e64 v11, v15, v14, s[0:1]
	v_add_co_u32_e64 v14, s[0:1], 2, v2
	v_addc_co_u32_e64 v15, s[0:1], 0, v10, s[0:1]
	v_add_co_u32_e64 v16, s[0:1], 1, v2
	v_addc_co_u32_e64 v17, s[0:1], 0, v10, s[0:1]
	v_subb_co_u32_e32 v7, vcc, v13, v7, vcc
	v_cmp_ne_u32_e64 s[0:1], 0, v11
	v_cmp_le_u32_e32 vcc, s25, v7
	v_cndmask_b32_e64 v11, v17, v15, s[0:1]
	v_cndmask_b32_e64 v15, 0, -1, vcc
	v_cmp_le_u32_e32 vcc, s24, v6
	v_cndmask_b32_e64 v6, 0, -1, vcc
	v_cmp_eq_u32_e32 vcc, s25, v7
	v_cndmask_b32_e32 v6, v15, v6, vcc
	v_cmp_ne_u32_e32 vcc, 0, v6
	v_cndmask_b32_e64 v6, v16, v14, s[0:1]
	v_cndmask_b32_e32 v11, v10, v11, vcc
	v_cndmask_b32_e32 v10, v2, v6, vcc
.LBB0_4:                                ;   in Loop: Header=BB0_2 Depth=1
	s_andn2_saveexec_b64 s[0:1], s[26:27]
	s_cbranch_execz .LBB0_6
; %bb.5:                                ;   in Loop: Header=BB0_2 Depth=1
	v_cvt_f32_u32_e32 v2, s24
	s_sub_i32 s26, 0, s24
	v_mov_b32_e32 v11, v5
	v_rcp_iflag_f32_e32 v2, v2
	v_mul_f32_e32 v2, 0x4f7ffffe, v2
	v_cvt_u32_f32_e32 v2, v2
	v_mul_lo_u32 v6, s26, v2
	v_mul_hi_u32 v6, v2, v6
	v_add_u32_e32 v2, v2, v6
	v_mul_hi_u32 v2, v12, v2
	v_mul_lo_u32 v6, v2, s24
	v_add_u32_e32 v7, 1, v2
	v_sub_u32_e32 v6, v12, v6
	v_subrev_u32_e32 v10, s24, v6
	v_cmp_le_u32_e32 vcc, s24, v6
	v_cndmask_b32_e32 v6, v6, v10, vcc
	v_cndmask_b32_e32 v2, v2, v7, vcc
	v_add_u32_e32 v7, 1, v2
	v_cmp_le_u32_e32 vcc, s24, v6
	v_cndmask_b32_e32 v10, v2, v7, vcc
.LBB0_6:                                ;   in Loop: Header=BB0_2 Depth=1
	s_or_b64 exec, exec, s[0:1]
	v_mul_lo_u32 v2, v11, s24
	v_mul_lo_u32 v14, v10, s25
	v_mad_u64_u32 v[6:7], s[0:1], v10, s24, 0
	s_load_dwordx2 s[0:1], s[6:7], 0x0
	s_load_dwordx2 s[24:25], s[2:3], 0x0
	v_add3_u32 v2, v7, v14, v2
	v_sub_co_u32_e32 v6, vcc, v12, v6
	v_subb_co_u32_e32 v2, vcc, v13, v2, vcc
	s_waitcnt lgkmcnt(0)
	v_mul_lo_u32 v7, s0, v2
	v_mul_lo_u32 v12, s1, v6
	v_mad_u64_u32 v[3:4], s[0:1], s0, v6, v[3:4]
	s_add_u32 s22, s22, 1
	s_addc_u32 s23, s23, 0
	s_add_u32 s2, s2, 8
	v_mul_lo_u32 v2, s24, v2
	v_mul_lo_u32 v13, s25, v6
	v_mad_u64_u32 v[8:9], s[0:1], s24, v6, v[8:9]
	v_add3_u32 v4, v12, v4, v7
	s_addc_u32 s3, s3, 0
	v_mov_b32_e32 v6, s14
	s_add_u32 s6, s6, 8
	v_mov_b32_e32 v7, s15
	s_addc_u32 s7, s7, 0
	v_cmp_ge_u64_e32 vcc, s[22:23], v[6:7]
	s_add_u32 s20, s20, 8
	v_add3_u32 v9, v13, v9, v2
	s_addc_u32 s21, s21, 0
	s_cbranch_vccnz .LBB0_8
; %bb.7:                                ;   in Loop: Header=BB0_2 Depth=1
	v_mov_b32_e32 v13, v11
	v_mov_b32_e32 v12, v10
	s_branch .LBB0_2
.LBB0_8:
	s_lshl_b64 s[14:15], s[14:15], 3
	s_load_dwordx2 s[0:1], s[4:5], 0x28
	s_add_u32 s2, s18, s14
	s_mov_b32 s3, 0xc30c30d
	v_mul_hi_u32 v2, v0, s3
	s_addc_u32 s3, s19, s15
	s_load_dwordx2 s[2:3], s[2:3], 0x0
	s_waitcnt lgkmcnt(0)
	v_cmp_gt_u64_e32 vcc, s[0:1], v[10:11]
	v_mul_u32_u24_e32 v2, 21, v2
	v_sub_u32_e32 v13, v0, v2
	v_mov_b32_e32 v6, 0
	v_mov_b32_e32 v12, 0
	;; [unrolled: 1-line block ×9, first 2 shown]
                                        ; implicit-def: $vgpr25
                                        ; implicit-def: $vgpr23
                                        ; implicit-def: $vgpr17
	s_and_saveexec_b64 s[4:5], vcc
	s_cbranch_execz .LBB0_12
; %bb.9:
	v_cmp_gt_u32_e64 s[0:1], 15, v13
	v_mov_b32_e32 v14, 0
	v_mov_b32_e32 v15, 0
	;; [unrolled: 1-line block ×8, first 2 shown]
                                        ; implicit-def: $vgpr16
                                        ; implicit-def: $vgpr22
                                        ; implicit-def: $vgpr24
	s_and_saveexec_b64 s[6:7], s[0:1]
	s_cbranch_execz .LBB0_11
; %bb.10:
	s_add_u32 s0, s16, s14
	s_addc_u32 s1, s17, s15
	s_load_dwordx2 s[0:1], s[0:1], 0x0
	v_mov_b32_e32 v7, s9
	v_mov_b32_e32 v14, 0
	s_waitcnt lgkmcnt(0)
	v_mul_lo_u32 v0, s1, v10
	v_mul_lo_u32 v2, s0, v11
	v_mad_u64_u32 v[5:6], s[0:1], s0, v10, 0
	v_add3_u32 v6, v6, v2, v0
	v_lshlrev_b64 v[5:6], 3, v[5:6]
	v_lshlrev_b64 v[2:3], 3, v[3:4]
	v_add_co_u32_e64 v0, s[0:1], s8, v5
	v_addc_co_u32_e64 v5, s[0:1], v7, v6, s[0:1]
	v_add_co_u32_e64 v0, s[0:1], v0, v2
	v_addc_co_u32_e64 v4, s[0:1], v5, v3, s[0:1]
	v_lshlrev_b64 v[2:3], 3, v[13:14]
	v_add_co_u32_e64 v2, s[0:1], v0, v2
	v_addc_co_u32_e64 v3, s[0:1], v4, v3, s[0:1]
	global_load_dwordx2 v[5:6], v[2:3], off
	global_load_dwordx2 v[20:21], v[2:3], off offset:120
	global_load_dwordx2 v[18:19], v[2:3], off offset:240
	;; [unrolled: 1-line block ×6, first 2 shown]
.LBB0_11:
	s_or_b64 exec, exec, s[6:7]
	v_mov_b32_e32 v12, v13
.LBB0_12:
	s_or_b64 exec, exec, s[4:5]
	s_mov_b32 s0, 0xaaaaaaab
	v_mul_hi_u32 v0, v1, s0
	s_waitcnt vmcnt(0)
	v_add_f32_e32 v26, v20, v24
	v_add_f32_e32 v2, v18, v22
	;; [unrolled: 1-line block ×3, first 2 shown]
	v_lshrrev_b32_e32 v0, 3, v0
	v_mul_lo_u32 v0, v0, 12
	v_sub_f32_e32 v20, v20, v24
	v_sub_f32_e32 v24, v21, v25
	v_add_f32_e32 v3, v19, v23
	v_sub_u32_e32 v25, v1, v0
	v_sub_f32_e32 v0, v19, v23
	v_add_f32_e32 v23, v14, v16
	v_add_f32_e32 v4, v26, v2
	;; [unrolled: 1-line block ×3, first 2 shown]
	v_sub_f32_e32 v14, v14, v16
	v_add_f32_e32 v7, v27, v3
	v_add_f32_e32 v16, v4, v23
	v_sub_f32_e32 v15, v15, v17
	v_add_f32_e32 v19, v7, v28
	v_add_f32_e32 v4, v5, v16
	v_sub_f32_e32 v1, v18, v22
	v_add_f32_e32 v5, v6, v19
	v_mov_b32_e32 v6, v4
	v_sub_f32_e32 v30, v2, v26
	v_sub_f32_e32 v2, v23, v2
	v_add_f32_e32 v7, v0, v15
	v_sub_f32_e32 v18, v15, v0
	v_fmac_f32_e32 v6, 0xbf955555, v16
	v_sub_f32_e32 v31, v0, v24
	v_add_f32_e32 v17, v24, v7
	v_mul_f32_e32 v16, 0x3d64c772, v2
	v_mul_f32_e32 v7, 0xbf08b237, v18
	s_mov_b32 s0, 0x3f5ff5aa
	s_mov_b32 s1, 0x3f3bfb3b
	v_fma_f32 v0, v30, s1, -v16
	v_fma_f32 v18, v31, s0, -v7
	v_add_f32_e32 v2, v0, v6
	v_fmac_f32_e32 v18, 0x3ee1c552, v17
	v_sub_f32_e32 v0, v2, v18
	v_add_f32_e32 v2, v18, v2
	v_mov_b32_e32 v18, v5
	v_fmac_f32_e32 v18, 0xbf955555, v19
	v_sub_f32_e32 v32, v3, v27
	v_sub_f32_e32 v3, v28, v3
	v_add_f32_e32 v19, v1, v14
	v_sub_f32_e32 v21, v14, v1
	v_sub_f32_e32 v33, v1, v20
	v_add_f32_e32 v22, v20, v19
	v_mul_f32_e32 v19, 0x3d64c772, v3
	v_mul_f32_e32 v21, 0xbf08b237, v21
	v_fma_f32 v1, v32, s1, -v19
	v_fma_f32 v29, v33, s0, -v21
	v_sub_f32_e32 v23, v26, v23
	v_sub_f32_e32 v26, v27, v28
	v_add_f32_e32 v3, v1, v18
	v_fmac_f32_e32 v29, 0x3ee1c552, v22
	v_mul_f32_e32 v23, 0x3f4a47b2, v23
	v_mul_f32_e32 v26, 0x3f4a47b2, v26
	s_mov_b32 s0, 0xbf3bfb3b
	v_add_f32_e32 v1, v3, v29
	v_sub_f32_e32 v3, v3, v29
	v_sub_f32_e32 v28, v20, v14
	;; [unrolled: 1-line block ×3, first 2 shown]
	v_mul_f32_e32 v14, 0x3f5ff5aa, v33
	v_mul_f32_e32 v15, 0x3f5ff5aa, v31
	v_fma_f32 v27, v30, s0, -v23
	v_fma_f32 v30, v32, s0, -v26
	s_mov_b32 s0, 0xbeae86e6
	v_mul_u32_u24_e32 v20, 0x69, v25
	v_fma_f32 v24, v28, s0, -v14
	v_fma_f32 v25, v29, s0, -v15
	v_add_f32_e32 v27, v27, v6
	v_add_f32_e32 v30, v30, v18
	v_fmac_f32_e32 v24, 0x3ee1c552, v22
	v_fmac_f32_e32 v25, 0x3ee1c552, v17
	v_sub_f32_e32 v14, v27, v25
	v_add_f32_e32 v15, v30, v24
	v_cmp_gt_u32_e64 s[0:1], 15, v13
	v_lshlrev_b32_e32 v20, 3, v20
	s_and_saveexec_b64 s[4:5], s[0:1]
	s_cbranch_execz .LBB0_14
; %bb.13:
	v_mul_f32_e32 v31, 0x3ee1c552, v17
	v_mul_f32_e32 v17, 0x3eae86e6, v28
	;; [unrolled: 1-line block ×3, first 2 shown]
	v_add_f32_e32 v17, v17, v21
	v_add_f32_e32 v21, v17, v22
	;; [unrolled: 1-line block ×3, first 2 shown]
	v_mul_f32_e32 v28, 0x3eae86e6, v29
	v_add_f32_e32 v18, v17, v18
	v_add_f32_e32 v16, v23, v16
	v_add_f32_e32 v17, v18, v21
	v_add_f32_e32 v22, v16, v6
	v_add_f32_e32 v6, v28, v7
	v_sub_f32_e32 v19, v18, v21
	v_mul_u32_u24_e32 v21, 56, v13
	v_add_f32_e32 v23, v6, v31
	v_add3_u32 v21, 0, v21, v20
	v_sub_f32_e32 v16, v22, v23
	v_sub_f32_e32 v7, v30, v24
	v_add_f32_e32 v6, v25, v27
	v_add_f32_e32 v18, v23, v22
	ds_write_b64 v21, v[4:5]
	ds_write2_b64 v21, v[18:19], v[6:7] offset0:1 offset1:2
	ds_write2_b64 v21, v[0:1], v[2:3] offset0:3 offset1:4
	;; [unrolled: 1-line block ×3, first 2 shown]
.LBB0_14:
	s_or_b64 exec, exec, s[4:5]
	v_lshlrev_b32_e32 v4, 3, v13
	v_add3_u32 v18, 0, v20, v4
	v_add3_u32 v19, 0, v4, v20
	s_waitcnt lgkmcnt(0)
	s_barrier
	ds_read_b64 v[16:17], v18
	ds_read2_b64 v[4:7], v19 offset0:35 offset1:70
	v_cmp_gt_u32_e64 s[0:1], 14, v13
	s_and_saveexec_b64 s[4:5], s[0:1]
	s_cbranch_execz .LBB0_16
; %bb.15:
	ds_read2_b64 v[0:3], v19 offset0:21 offset1:56
	ds_read_b64 v[14:15], v19 offset:728
.LBB0_16:
	s_or_b64 exec, exec, s[4:5]
	v_mov_b32_e32 v21, 37
	v_mul_lo_u16_sdwa v22, v13, v21 dst_sel:DWORD dst_unused:UNUSED_PAD src0_sel:BYTE_0 src1_sel:DWORD
	v_sub_u16_sdwa v23, v13, v22 dst_sel:DWORD dst_unused:UNUSED_PAD src0_sel:DWORD src1_sel:BYTE_1
	v_lshrrev_b16_e32 v23, 1, v23
	v_and_b32_e32 v23, 0x7f, v23
	v_add_u16_sdwa v22, v23, v22 dst_sel:DWORD dst_unused:UNUSED_PAD src0_sel:DWORD src1_sel:BYTE_1
	v_lshrrev_b16_e32 v28, 2, v22
	v_mul_lo_u16_e32 v22, 7, v28
	v_sub_u16_e32 v29, v13, v22
	v_mov_b32_e32 v22, 4
	v_lshlrev_b32_sdwa v23, v22, v29 dst_sel:DWORD dst_unused:UNUSED_PAD src0_sel:DWORD src1_sel:BYTE_0
	global_load_dwordx4 v[24:27], v23, s[12:13]
	s_movk_i32 s6, 0xa8
	v_mov_b32_e32 v23, 3
	v_mad_u32_u24 v28, v28, s6, 0
	v_lshlrev_b32_sdwa v29, v23, v29 dst_sel:DWORD dst_unused:UNUSED_PAD src0_sel:DWORD src1_sel:BYTE_0
	v_add3_u32 v28, v28, v29, v20
	s_waitcnt vmcnt(0) lgkmcnt(0)
	s_barrier
	v_mul_f32_e32 v29, v25, v5
	v_mul_f32_e32 v25, v25, v4
	;; [unrolled: 1-line block ×4, first 2 shown]
	v_fma_f32 v4, v24, v4, -v29
	v_fmac_f32_e32 v25, v24, v5
	v_fma_f32 v5, v26, v6, -v30
	v_fmac_f32_e32 v27, v26, v7
	v_add_f32_e32 v7, v4, v5
	v_sub_f32_e32 v24, v25, v27
	v_add_f32_e32 v26, v25, v17
	v_add_f32_e32 v25, v25, v27
	;; [unrolled: 1-line block ×3, first 2 shown]
	v_fma_f32 v16, -0.5, v7, v16
	v_fmac_f32_e32 v17, -0.5, v25
	v_sub_f32_e32 v29, v4, v5
	v_add_f32_e32 v4, v6, v5
	v_mov_b32_e32 v6, v16
	v_mov_b32_e32 v7, v17
	v_add_f32_e32 v5, v26, v27
	v_fmac_f32_e32 v6, 0x3f5db3d7, v24
	v_fmac_f32_e32 v7, 0xbf5db3d7, v29
	v_fmac_f32_e32 v16, 0xbf5db3d7, v24
	v_fmac_f32_e32 v17, 0x3f5db3d7, v29
	ds_write2_b64 v28, v[4:5], v[6:7] offset1:7
	ds_write_b64 v28, v[16:17] offset:112
	s_and_saveexec_b64 s[4:5], s[0:1]
	s_cbranch_execz .LBB0_18
; %bb.17:
	v_add_u16_e32 v4, 21, v13
	v_mul_lo_u16_sdwa v5, v4, v21 dst_sel:DWORD dst_unused:UNUSED_PAD src0_sel:BYTE_0 src1_sel:DWORD
	v_sub_u16_sdwa v6, v4, v5 dst_sel:DWORD dst_unused:UNUSED_PAD src0_sel:DWORD src1_sel:BYTE_1
	v_lshrrev_b16_e32 v6, 1, v6
	v_and_b32_e32 v6, 0x7f, v6
	v_add_u16_sdwa v5, v6, v5 dst_sel:DWORD dst_unused:UNUSED_PAD src0_sel:DWORD src1_sel:BYTE_1
	v_lshrrev_b16_e32 v16, 2, v5
	v_mul_lo_u16_e32 v5, 7, v16
	v_sub_u16_e32 v17, v4, v5
	v_lshlrev_b32_sdwa v4, v22, v17 dst_sel:DWORD dst_unused:UNUSED_PAD src0_sel:DWORD src1_sel:BYTE_0
	global_load_dwordx4 v[4:7], v4, s[12:13]
	v_mad_u32_u24 v16, v16, s6, 0
	v_lshlrev_b32_sdwa v17, v23, v17 dst_sel:DWORD dst_unused:UNUSED_PAD src0_sel:DWORD src1_sel:BYTE_0
	v_add3_u32 v16, v16, v17, v20
	s_waitcnt vmcnt(0)
	v_mul_f32_e32 v17, v2, v5
	v_mul_f32_e32 v20, v14, v7
	;; [unrolled: 1-line block ×4, first 2 shown]
	v_fmac_f32_e32 v17, v3, v4
	v_fmac_f32_e32 v20, v15, v6
	v_fma_f32 v2, v2, v4, -v5
	v_fma_f32 v4, v14, v6, -v7
	v_add_f32_e32 v3, v17, v20
	v_add_f32_e32 v5, v2, v4
	v_sub_f32_e32 v6, v2, v4
	v_add_f32_e32 v14, v1, v17
	v_add_f32_e32 v2, v0, v2
	v_fma_f32 v1, -0.5, v3, v1
	v_fma_f32 v0, -0.5, v5, v0
	v_sub_f32_e32 v7, v17, v20
	v_add_f32_e32 v2, v2, v4
	v_mov_b32_e32 v5, v1
	v_mov_b32_e32 v4, v0
	v_add_f32_e32 v3, v14, v20
	v_fmac_f32_e32 v5, 0xbf5db3d7, v6
	v_fmac_f32_e32 v4, 0x3f5db3d7, v7
	;; [unrolled: 1-line block ×4, first 2 shown]
	ds_write2_b64 v16, v[2:3], v[4:5] offset1:7
	ds_write_b64 v16, v[0:1] offset:112
.LBB0_18:
	s_or_b64 exec, exec, s[4:5]
	s_waitcnt lgkmcnt(0)
	s_barrier
	s_and_saveexec_b64 s[0:1], vcc
	s_cbranch_execz .LBB0_20
; %bb.19:
	v_lshlrev_b32_e32 v16, 2, v13
	v_mov_b32_e32 v17, 0
	v_lshlrev_b64 v[0:1], 3, v[16:17]
	v_mov_b32_e32 v2, s13
	v_add_co_u32_e32 v13, vcc, s12, v0
	v_addc_co_u32_e32 v14, vcc, v2, v1, vcc
	global_load_dwordx4 v[0:3], v[13:14], off offset:112
	global_load_dwordx4 v[4:7], v[13:14], off offset:128
	v_mul_lo_u32 v25, s3, v10
	v_mul_lo_u32 v26, s2, v11
	v_mad_u64_u32 v[10:11], s[0:1], s2, v10, 0
	ds_read2_b64 v[13:16], v19 offset0:21 offset1:42
	ds_read2_b64 v[19:22], v19 offset0:63 offset1:84
	ds_read2_b32 v[23:24], v18 offset1:1
	v_lshlrev_b64 v[8:9], 3, v[8:9]
	v_add3_u32 v11, v11, v26, v25
	v_lshlrev_b64 v[10:11], 3, v[10:11]
	v_add_co_u32_e32 v10, vcc, s10, v10
	s_waitcnt vmcnt(1) lgkmcnt(2)
	v_mul_f32_e32 v18, v0, v14
	v_mul_f32_e32 v25, v2, v16
	v_mul_f32_e32 v16, v3, v16
	v_mul_f32_e32 v14, v1, v14
	s_waitcnt vmcnt(0) lgkmcnt(1)
	v_mul_f32_e32 v26, v6, v22
	v_mul_f32_e32 v27, v4, v20
	v_fmac_f32_e32 v18, v1, v13
	v_fmac_f32_e32 v25, v3, v15
	v_fma_f32 v15, v2, v15, -v16
	v_fma_f32 v2, v0, v13, -v14
	v_mul_f32_e32 v0, v5, v20
	v_mul_f32_e32 v1, v7, v22
	v_fmac_f32_e32 v26, v7, v21
	v_fmac_f32_e32 v27, v5, v19
	v_fma_f32 v13, v4, v19, -v0
	v_fma_f32 v14, v6, v21, -v1
	v_sub_f32_e32 v0, v18, v25
	v_sub_f32_e32 v1, v26, v27
	v_add_f32_e32 v3, v25, v27
	v_sub_f32_e32 v4, v2, v15
	v_sub_f32_e32 v5, v14, v13
	v_add_f32_e32 v6, v15, v13
	v_add_f32_e32 v28, v18, v26
	v_add_f32_e32 v30, v0, v1
	v_add_f32_e32 v32, v4, v5
	s_waitcnt lgkmcnt(0)
	v_fma_f32 v1, -0.5, v3, v24
	v_add_f32_e32 v4, v2, v14
	v_add_f32_e32 v5, v18, v24
	v_sub_f32_e32 v19, v2, v14
	v_sub_f32_e32 v7, v25, v18
	;; [unrolled: 1-line block ×4, first 2 shown]
	v_fma_f32 v0, -0.5, v6, v23
	v_add_f32_e32 v6, v2, v23
	v_fma_f32 v3, -0.5, v28, v24
	v_fma_f32 v2, -0.5, v4, v23
	v_add_f32_e32 v23, v25, v5
	v_mov_b32_e32 v5, v1
	v_sub_f32_e32 v16, v15, v13
	v_sub_f32_e32 v20, v18, v26
	v_add_f32_e32 v18, v7, v22
	v_mov_b32_e32 v7, v3
	v_fmac_f32_e32 v1, 0xbf737871, v19
	v_fmac_f32_e32 v5, 0x3f737871, v19
	v_add_f32_e32 v15, v15, v6
	v_fmac_f32_e32 v3, 0xbf737871, v16
	v_fmac_f32_e32 v7, 0x3f737871, v16
	;; [unrolled: 1-line block ×4, first 2 shown]
	v_mov_b32_e32 v16, s11
	v_sub_f32_e32 v31, v13, v14
	v_add_f32_e32 v13, v13, v15
	v_addc_co_u32_e32 v11, vcc, v16, v11, vcc
	v_add_f32_e32 v14, v14, v13
	v_mov_b32_e32 v13, v17
	v_add_co_u32_e32 v10, vcc, v10, v8
	v_addc_co_u32_e32 v11, vcc, v11, v9, vcc
	v_lshlrev_b64 v[8:9], 3, v[12:13]
	v_sub_f32_e32 v21, v25, v27
	v_mov_b32_e32 v4, v0
	v_mov_b32_e32 v6, v2
	v_fmac_f32_e32 v0, 0x3f737871, v20
	v_add_f32_e32 v23, v23, v27
	v_fmac_f32_e32 v2, 0x3f737871, v21
	v_fmac_f32_e32 v4, 0xbf737871, v20
	;; [unrolled: 1-line block ×3, first 2 shown]
	v_add_co_u32_e32 v8, vcc, v10, v8
	v_add_f32_e32 v22, v29, v31
	v_fmac_f32_e32 v0, 0x3f167918, v21
	v_add_f32_e32 v15, v26, v23
	v_fmac_f32_e32 v3, 0x3f167918, v19
	v_fmac_f32_e32 v4, 0xbf167918, v21
	;; [unrolled: 1-line block ×5, first 2 shown]
	v_addc_co_u32_e32 v9, vcc, v11, v9, vcc
	v_fmac_f32_e32 v1, 0x3e9e377a, v30
	v_fmac_f32_e32 v0, 0x3e9e377a, v32
	;; [unrolled: 1-line block ×8, first 2 shown]
	global_store_dwordx2 v[8:9], v[14:15], off
	global_store_dwordx2 v[8:9], v[0:1], off offset:168
	global_store_dwordx2 v[8:9], v[6:7], off offset:336
	;; [unrolled: 1-line block ×4, first 2 shown]
.LBB0_20:
	s_endpgm
	.section	.rodata,"a",@progbits
	.p2align	6, 0x0
	.amdhsa_kernel fft_rtc_fwd_len105_factors_7_3_5_wgs_252_tpt_21_sp_op_CI_CI_unitstride_sbrr_dirReg
		.amdhsa_group_segment_fixed_size 0
		.amdhsa_private_segment_fixed_size 0
		.amdhsa_kernarg_size 104
		.amdhsa_user_sgpr_count 6
		.amdhsa_user_sgpr_private_segment_buffer 1
		.amdhsa_user_sgpr_dispatch_ptr 0
		.amdhsa_user_sgpr_queue_ptr 0
		.amdhsa_user_sgpr_kernarg_segment_ptr 1
		.amdhsa_user_sgpr_dispatch_id 0
		.amdhsa_user_sgpr_flat_scratch_init 0
		.amdhsa_user_sgpr_private_segment_size 0
		.amdhsa_uses_dynamic_stack 0
		.amdhsa_system_sgpr_private_segment_wavefront_offset 0
		.amdhsa_system_sgpr_workgroup_id_x 1
		.amdhsa_system_sgpr_workgroup_id_y 0
		.amdhsa_system_sgpr_workgroup_id_z 0
		.amdhsa_system_sgpr_workgroup_info 0
		.amdhsa_system_vgpr_workitem_id 0
		.amdhsa_next_free_vgpr 34
		.amdhsa_next_free_sgpr 28
		.amdhsa_reserve_vcc 1
		.amdhsa_reserve_flat_scratch 0
		.amdhsa_float_round_mode_32 0
		.amdhsa_float_round_mode_16_64 0
		.amdhsa_float_denorm_mode_32 3
		.amdhsa_float_denorm_mode_16_64 3
		.amdhsa_dx10_clamp 1
		.amdhsa_ieee_mode 1
		.amdhsa_fp16_overflow 0
		.amdhsa_exception_fp_ieee_invalid_op 0
		.amdhsa_exception_fp_denorm_src 0
		.amdhsa_exception_fp_ieee_div_zero 0
		.amdhsa_exception_fp_ieee_overflow 0
		.amdhsa_exception_fp_ieee_underflow 0
		.amdhsa_exception_fp_ieee_inexact 0
		.amdhsa_exception_int_div_zero 0
	.end_amdhsa_kernel
	.text
.Lfunc_end0:
	.size	fft_rtc_fwd_len105_factors_7_3_5_wgs_252_tpt_21_sp_op_CI_CI_unitstride_sbrr_dirReg, .Lfunc_end0-fft_rtc_fwd_len105_factors_7_3_5_wgs_252_tpt_21_sp_op_CI_CI_unitstride_sbrr_dirReg
                                        ; -- End function
	.section	.AMDGPU.csdata,"",@progbits
; Kernel info:
; codeLenInByte = 3284
; NumSgprs: 32
; NumVgprs: 34
; ScratchSize: 0
; MemoryBound: 0
; FloatMode: 240
; IeeeMode: 1
; LDSByteSize: 0 bytes/workgroup (compile time only)
; SGPRBlocks: 3
; VGPRBlocks: 8
; NumSGPRsForWavesPerEU: 32
; NumVGPRsForWavesPerEU: 34
; Occupancy: 7
; WaveLimiterHint : 1
; COMPUTE_PGM_RSRC2:SCRATCH_EN: 0
; COMPUTE_PGM_RSRC2:USER_SGPR: 6
; COMPUTE_PGM_RSRC2:TRAP_HANDLER: 0
; COMPUTE_PGM_RSRC2:TGID_X_EN: 1
; COMPUTE_PGM_RSRC2:TGID_Y_EN: 0
; COMPUTE_PGM_RSRC2:TGID_Z_EN: 0
; COMPUTE_PGM_RSRC2:TIDIG_COMP_CNT: 0
	.type	__hip_cuid_7ee672b621b1da2b,@object ; @__hip_cuid_7ee672b621b1da2b
	.section	.bss,"aw",@nobits
	.globl	__hip_cuid_7ee672b621b1da2b
__hip_cuid_7ee672b621b1da2b:
	.byte	0                               ; 0x0
	.size	__hip_cuid_7ee672b621b1da2b, 1

	.ident	"AMD clang version 19.0.0git (https://github.com/RadeonOpenCompute/llvm-project roc-6.4.0 25133 c7fe45cf4b819c5991fe208aaa96edf142730f1d)"
	.section	".note.GNU-stack","",@progbits
	.addrsig
	.addrsig_sym __hip_cuid_7ee672b621b1da2b
	.amdgpu_metadata
---
amdhsa.kernels:
  - .args:
      - .actual_access:  read_only
        .address_space:  global
        .offset:         0
        .size:           8
        .value_kind:     global_buffer
      - .offset:         8
        .size:           8
        .value_kind:     by_value
      - .actual_access:  read_only
        .address_space:  global
        .offset:         16
        .size:           8
        .value_kind:     global_buffer
      - .actual_access:  read_only
        .address_space:  global
        .offset:         24
        .size:           8
        .value_kind:     global_buffer
      - .actual_access:  read_only
        .address_space:  global
        .offset:         32
        .size:           8
        .value_kind:     global_buffer
      - .offset:         40
        .size:           8
        .value_kind:     by_value
      - .actual_access:  read_only
        .address_space:  global
        .offset:         48
        .size:           8
        .value_kind:     global_buffer
      - .actual_access:  read_only
        .address_space:  global
        .offset:         56
        .size:           8
        .value_kind:     global_buffer
      - .offset:         64
        .size:           4
        .value_kind:     by_value
      - .actual_access:  read_only
        .address_space:  global
        .offset:         72
        .size:           8
        .value_kind:     global_buffer
      - .actual_access:  read_only
        .address_space:  global
        .offset:         80
        .size:           8
        .value_kind:     global_buffer
      - .actual_access:  read_only
        .address_space:  global
        .offset:         88
        .size:           8
        .value_kind:     global_buffer
      - .actual_access:  write_only
        .address_space:  global
        .offset:         96
        .size:           8
        .value_kind:     global_buffer
    .group_segment_fixed_size: 0
    .kernarg_segment_align: 8
    .kernarg_segment_size: 104
    .language:       OpenCL C
    .language_version:
      - 2
      - 0
    .max_flat_workgroup_size: 252
    .name:           fft_rtc_fwd_len105_factors_7_3_5_wgs_252_tpt_21_sp_op_CI_CI_unitstride_sbrr_dirReg
    .private_segment_fixed_size: 0
    .sgpr_count:     32
    .sgpr_spill_count: 0
    .symbol:         fft_rtc_fwd_len105_factors_7_3_5_wgs_252_tpt_21_sp_op_CI_CI_unitstride_sbrr_dirReg.kd
    .uniform_work_group_size: 1
    .uses_dynamic_stack: false
    .vgpr_count:     34
    .vgpr_spill_count: 0
    .wavefront_size: 64
amdhsa.target:   amdgcn-amd-amdhsa--gfx906
amdhsa.version:
  - 1
  - 2
...

	.end_amdgpu_metadata
